;; amdgpu-corpus repo=ROCm/AMDMIGraphX kind=compiled arch=gfx906 opt=O3
	.text
	.amdgcn_target "amdgcn-amd-amdhsa--gfx906"
	.amdhsa_code_object_version 6
	.protected	nonzero_f32             ; -- Begin function nonzero_f32
	.globl	nonzero_f32
	.p2align	8
	.type	nonzero_f32,@function
nonzero_f32:                            ; @nonzero_f32
; %bb.0:
	s_load_dwordx4 s[16:19], s[4:5], 0x0
	v_cmp_lt_u32_e32 vcc, 63, v0
	v_cmp_gt_u32_e64 s[0:1], 64, v0
	s_and_saveexec_b64 s[2:3], s[0:1]
	s_cbranch_execz .LBB0_2
; %bb.1:
	v_mov_b32_e32 v1, 0
	v_lshlrev_b32_e32 v3, 3, v0
	v_mov_b32_e32 v2, v1
	s_waitcnt lgkmcnt(0)
	global_store_dwordx2 v3, v[1:2], s[18:19]
.LBB0_2:
	s_or_b64 exec, exec, s[2:3]
	v_cmp_gt_u32_e64 s[0:1], 32, v0
	v_mov_b32_e32 v2, 0
	v_lshlrev_b32_e32 v1, 2, v0
	s_and_saveexec_b64 s[4:5], s[0:1]
	s_cbranch_execz .LBB0_4
; %bb.3:
	s_waitcnt lgkmcnt(0)
	global_load_dword v2, v1, s[16:17]
	s_waitcnt vmcnt(0)
	v_cmp_lg_f32_e64 s[2:3], 0, v2
	v_cndmask_b32_e64 v2, 0, 1, s[2:3]
.LBB0_4:
	s_or_b64 exec, exec, s[4:5]
	v_mbcnt_lo_u32_b32 v3, -1, 0
	v_mbcnt_hi_u32_b32 v7, -1, v3
	v_add_u32_e32 v3, -1, v7
	v_and_b32_e32 v10, 64, v7
	v_cmp_lt_i32_e64 s[2:3], v3, v10
	v_cndmask_b32_e64 v3, v3, v7, s[2:3]
	v_lshlrev_b32_e32 v3, 2, v3
	ds_bpermute_b32 v4, v3, v2
	v_and_b32_e32 v12, 63, v0
	v_cmp_eq_u32_e64 s[2:3], 0, v12
	v_cmp_lt_u32_e64 s[10:11], 7, v12
	v_cmp_eq_u32_e64 s[14:15], 63, v12
	s_waitcnt lgkmcnt(0)
	v_cndmask_b32_e64 v4, v4, 0, s[2:3]
	v_add_u32_e32 v5, v4, v2
	v_add_u32_e32 v4, -2, v7
	v_cmp_lt_i32_e64 s[4:5], v4, v10
	v_cndmask_b32_e64 v4, v4, v7, s[4:5]
	v_lshlrev_b32_e32 v4, 2, v4
	ds_bpermute_b32 v6, v4, v5
	v_cmp_gt_u32_e64 s[4:5], 2, v12
	s_waitcnt lgkmcnt(0)
	v_cndmask_b32_e64 v6, v6, 0, s[4:5]
	v_add_u32_e32 v5, v5, v6
	v_add_u32_e32 v6, -4, v7
	v_cmp_lt_i32_e64 s[6:7], v6, v10
	v_cndmask_b32_e64 v6, v6, v7, s[6:7]
	v_lshlrev_b32_e32 v6, 2, v6
	ds_bpermute_b32 v8, v6, v5
	v_cmp_lt_u32_e64 s[6:7], 3, v12
	s_waitcnt lgkmcnt(0)
	v_cndmask_b32_e64 v8, 0, v8, s[6:7]
	v_add_u32_e32 v5, v5, v8
	v_add_u32_e32 v8, -8, v7
	v_cmp_lt_i32_e64 s[8:9], v8, v10
	v_cndmask_b32_e64 v8, v8, v7, s[8:9]
	v_lshlrev_b32_e32 v8, 2, v8
	ds_bpermute_b32 v9, v8, v5
	s_waitcnt lgkmcnt(0)
	v_cndmask_b32_e64 v9, 0, v9, s[10:11]
	v_add_u32_e32 v5, v5, v9
	v_add_u32_e32 v9, -16, v7
	v_cmp_lt_i32_e64 s[8:9], v9, v10
	v_cndmask_b32_e64 v9, v9, v7, s[8:9]
	v_lshlrev_b32_e32 v9, 2, v9
	ds_bpermute_b32 v11, v9, v5
	v_cmp_lt_u32_e64 s[8:9], 15, v12
	s_waitcnt lgkmcnt(0)
	v_cndmask_b32_e64 v11, 0, v11, s[8:9]
	v_add_u32_e32 v13, v5, v11
	v_subrev_u32_e32 v11, 32, v7
	v_cmp_lt_i32_e64 s[12:13], v11, v10
	v_cndmask_b32_e64 v7, v11, v7, s[12:13]
	v_lshlrev_b32_e32 v11, 2, v7
	ds_bpermute_b32 v7, v11, v13
	v_cmp_lt_u32_e64 s[12:13], 31, v12
	s_waitcnt lgkmcnt(0)
	v_cndmask_b32_e64 v7, 0, v7, s[12:13]
	v_add_u32_e32 v10, v13, v7
	v_lshrrev_b32_e32 v7, 6, v0
	s_and_saveexec_b64 s[20:21], s[14:15]
	s_cbranch_execz .LBB0_6
; %bb.5:
	v_lshlrev_b32_e32 v12, 2, v7
	ds_write_b32 v12, v10
.LBB0_6:
	s_or_b64 exec, exec, s[20:21]
	v_cmp_gt_u32_e64 s[14:15], 4, v0
	s_waitcnt vmcnt(0) lgkmcnt(0)
	s_barrier
	s_and_saveexec_b64 s[20:21], s[14:15]
	s_cbranch_execz .LBB0_8
; %bb.7:
	ds_read_b32 v12, v1
	s_waitcnt lgkmcnt(0)
	ds_bpermute_b32 v3, v3, v12
	s_waitcnt lgkmcnt(0)
	v_cndmask_b32_e64 v3, v3, 0, s[2:3]
	v_add_u32_e32 v3, v3, v12
	ds_bpermute_b32 v4, v4, v3
	s_waitcnt lgkmcnt(0)
	v_cndmask_b32_e64 v4, v4, 0, s[4:5]
	v_add_u32_e32 v3, v3, v4
	;; [unrolled: 4-line block ×6, first 2 shown]
	v_cndmask_b32_e64 v3, v3, v4, s[8:9]
	v_cndmask_b32_e64 v3, v3, v12, s[2:3]
	ds_write_b32 v1, v3
.LBB0_8:
	s_or_b64 exec, exec, s[20:21]
	v_cndmask_b32_e64 v3, v5, v10, s[8:9]
	v_cndmask_b32_e64 v2, v3, v2, s[2:3]
	s_waitcnt lgkmcnt(0)
	s_barrier
	s_and_saveexec_b64 s[2:3], vcc
	s_cbranch_execz .LBB0_10
; %bb.9:
	v_lshl_add_u32 v3, v7, 2, -4
	ds_read_b32 v3, v3
	s_waitcnt lgkmcnt(0)
	v_add_u32_e32 v2, v3, v2
.LBB0_10:
	s_or_b64 exec, exec, s[2:3]
	s_and_saveexec_b64 s[2:3], s[0:1]
	s_cbranch_execz .LBB0_13
; %bb.11:
	global_load_dword v1, v1, s[16:17]
	s_waitcnt vmcnt(0)
	v_cmp_lg_f32_e32 vcc, 0, v1
	s_and_b64 exec, exec, vcc
	s_cbranch_execz .LBB0_13
; %bb.12:
	v_add_u32_e32 v3, 31, v2
	v_mov_b32_e32 v4, 0
	v_lshlrev_b64 v[5:6], 3, v[3:4]
	v_mov_b32_e32 v1, s19
	v_add_co_u32_e32 v5, vcc, s18, v5
	v_addc_co_u32_e32 v6, vcc, v1, v6, vcc
	v_add_u32_e32 v1, -1, v2
	v_mov_b32_e32 v2, v4
	v_lshlrev_b64 v[1:2], 3, v[1:2]
	v_mov_b32_e32 v7, s19
	v_add_co_u32_e32 v1, vcc, s18, v1
	v_addc_co_u32_e32 v2, vcc, v7, v2, vcc
	v_lshrrev_b32_e32 v7, 3, v0
	v_mov_b32_e32 v8, v4
	v_and_b32_e32 v3, 7, v0
	global_store_dwordx2 v[1:2], v[7:8], off
	global_store_dwordx2 v[5:6], v[3:4], off
.LBB0_13:
	s_endpgm
	.section	.rodata,"a",@progbits
	.p2align	6, 0x0
	.amdhsa_kernel nonzero_f32
		.amdhsa_group_segment_fixed_size 16
		.amdhsa_private_segment_fixed_size 0
		.amdhsa_kernarg_size 16
		.amdhsa_user_sgpr_count 6
		.amdhsa_user_sgpr_private_segment_buffer 1
		.amdhsa_user_sgpr_dispatch_ptr 0
		.amdhsa_user_sgpr_queue_ptr 0
		.amdhsa_user_sgpr_kernarg_segment_ptr 1
		.amdhsa_user_sgpr_dispatch_id 0
		.amdhsa_user_sgpr_flat_scratch_init 0
		.amdhsa_user_sgpr_private_segment_size 0
		.amdhsa_uses_dynamic_stack 0
		.amdhsa_system_sgpr_private_segment_wavefront_offset 0
		.amdhsa_system_sgpr_workgroup_id_x 1
		.amdhsa_system_sgpr_workgroup_id_y 0
		.amdhsa_system_sgpr_workgroup_id_z 0
		.amdhsa_system_sgpr_workgroup_info 0
		.amdhsa_system_vgpr_workitem_id 0
		.amdhsa_next_free_vgpr 14
		.amdhsa_next_free_sgpr 22
		.amdhsa_reserve_vcc 1
		.amdhsa_reserve_flat_scratch 0
		.amdhsa_float_round_mode_32 0
		.amdhsa_float_round_mode_16_64 0
		.amdhsa_float_denorm_mode_32 3
		.amdhsa_float_denorm_mode_16_64 3
		.amdhsa_dx10_clamp 1
		.amdhsa_ieee_mode 1
		.amdhsa_fp16_overflow 0
		.amdhsa_exception_fp_ieee_invalid_op 0
		.amdhsa_exception_fp_denorm_src 0
		.amdhsa_exception_fp_ieee_div_zero 0
		.amdhsa_exception_fp_ieee_overflow 0
		.amdhsa_exception_fp_ieee_underflow 0
		.amdhsa_exception_fp_ieee_inexact 0
		.amdhsa_exception_int_div_zero 0
	.end_amdhsa_kernel
	.text
.Lfunc_end0:
	.size	nonzero_f32, .Lfunc_end0-nonzero_f32
                                        ; -- End function
	.section	.AMDGPU.csdata,"",@progbits
; Kernel info:
; codeLenInByte = 900
; NumSgprs: 26
; NumVgprs: 14
; ScratchSize: 0
; MemoryBound: 0
; FloatMode: 240
; IeeeMode: 1
; LDSByteSize: 16 bytes/workgroup (compile time only)
; SGPRBlocks: 3
; VGPRBlocks: 3
; NumSGPRsForWavesPerEU: 26
; NumVGPRsForWavesPerEU: 14
; Occupancy: 8
; WaveLimiterHint : 0
; COMPUTE_PGM_RSRC2:SCRATCH_EN: 0
; COMPUTE_PGM_RSRC2:USER_SGPR: 6
; COMPUTE_PGM_RSRC2:TRAP_HANDLER: 0
; COMPUTE_PGM_RSRC2:TGID_X_EN: 1
; COMPUTE_PGM_RSRC2:TGID_Y_EN: 0
; COMPUTE_PGM_RSRC2:TGID_Z_EN: 0
; COMPUTE_PGM_RSRC2:TIDIG_COMP_CNT: 0
	.type	__hip_cuid_6d3ae49dbffabf05,@object ; @__hip_cuid_6d3ae49dbffabf05
	.section	.bss,"aw",@nobits
	.globl	__hip_cuid_6d3ae49dbffabf05
__hip_cuid_6d3ae49dbffabf05:
	.byte	0                               ; 0x0
	.size	__hip_cuid_6d3ae49dbffabf05, 1

	.ident	"AMD clang version 19.0.0git (https://github.com/RadeonOpenCompute/llvm-project roc-6.4.0 25133 c7fe45cf4b819c5991fe208aaa96edf142730f1d)"
	.section	".note.GNU-stack","",@progbits
	.addrsig
	.addrsig_sym __hip_cuid_6d3ae49dbffabf05
	.amdgpu_metadata
---
amdhsa.kernels:
  - .args:
      - .address_space:  global
        .offset:         0
        .size:           8
        .value_kind:     global_buffer
      - .address_space:  global
        .offset:         8
        .size:           8
        .value_kind:     global_buffer
    .group_segment_fixed_size: 16
    .kernarg_segment_align: 8
    .kernarg_segment_size: 16
    .language:       OpenCL C
    .language_version:
      - 2
      - 0
    .max_flat_workgroup_size: 1024
    .name:           nonzero_f32
    .private_segment_fixed_size: 0
    .sgpr_count:     26
    .sgpr_spill_count: 0
    .symbol:         nonzero_f32.kd
    .uniform_work_group_size: 1
    .uses_dynamic_stack: false
    .vgpr_count:     14
    .vgpr_spill_count: 0
    .wavefront_size: 64
amdhsa.target:   amdgcn-amd-amdhsa--gfx906
amdhsa.version:
  - 1
  - 2
...

	.end_amdgpu_metadata
